;; amdgpu-corpus repo=ROCm/rocFFT kind=compiled arch=gfx1201 opt=O3
	.text
	.amdgcn_target "amdgcn-amd-amdhsa--gfx1201"
	.amdhsa_code_object_version 6
	.protected	fft_rtc_fwd_len540_factors_3_10_6_3_wgs_216_tpt_54_halfLds_dp_ip_CI_unitstride_sbrr_R2C_dirReg ; -- Begin function fft_rtc_fwd_len540_factors_3_10_6_3_wgs_216_tpt_54_halfLds_dp_ip_CI_unitstride_sbrr_R2C_dirReg
	.globl	fft_rtc_fwd_len540_factors_3_10_6_3_wgs_216_tpt_54_halfLds_dp_ip_CI_unitstride_sbrr_R2C_dirReg
	.p2align	8
	.type	fft_rtc_fwd_len540_factors_3_10_6_3_wgs_216_tpt_54_halfLds_dp_ip_CI_unitstride_sbrr_R2C_dirReg,@function
fft_rtc_fwd_len540_factors_3_10_6_3_wgs_216_tpt_54_halfLds_dp_ip_CI_unitstride_sbrr_R2C_dirReg: ; @fft_rtc_fwd_len540_factors_3_10_6_3_wgs_216_tpt_54_halfLds_dp_ip_CI_unitstride_sbrr_R2C_dirReg
; %bb.0:
	s_clause 0x2
	s_load_b128 s[4:7], s[0:1], 0x0
	s_load_b64 s[8:9], s[0:1], 0x50
	s_load_b64 s[10:11], s[0:1], 0x18
	v_mul_u32_u24_e32 v1, 0x4be, v0
	v_mov_b32_e32 v3, 0
	s_delay_alu instid0(VALU_DEP_2) | instskip(SKIP_2) | instid1(VALU_DEP_4)
	v_lshrrev_b32_e32 v9, 16, v1
	v_mov_b32_e32 v1, 0
	v_mov_b32_e32 v2, 0
	;; [unrolled: 1-line block ×3, first 2 shown]
	s_delay_alu instid0(VALU_DEP_4) | instskip(SKIP_2) | instid1(VALU_DEP_1)
	v_lshl_add_u32 v5, ttmp9, 2, v9
	s_wait_kmcnt 0x0
	v_cmp_lt_u64_e64 s2, s[6:7], 2
	s_and_b32 vcc_lo, exec_lo, s2
	s_cbranch_vccnz .LBB0_8
; %bb.1:
	s_load_b64 s[2:3], s[0:1], 0x10
	v_mov_b32_e32 v1, 0
	v_mov_b32_e32 v2, 0
	s_add_nc_u64 s[12:13], s[10:11], 8
	s_mov_b64 s[14:15], 1
	s_wait_kmcnt 0x0
	s_add_nc_u64 s[16:17], s[2:3], 8
	s_mov_b32 s3, 0
.LBB0_2:                                ; =>This Inner Loop Header: Depth=1
	s_load_b64 s[18:19], s[16:17], 0x0
                                        ; implicit-def: $vgpr7_vgpr8
	s_mov_b32 s2, exec_lo
	s_wait_kmcnt 0x0
	v_or_b32_e32 v4, s19, v6
	s_delay_alu instid0(VALU_DEP_1)
	v_cmpx_ne_u64_e32 0, v[3:4]
	s_wait_alu 0xfffe
	s_xor_b32 s20, exec_lo, s2
	s_cbranch_execz .LBB0_4
; %bb.3:                                ;   in Loop: Header=BB0_2 Depth=1
	s_cvt_f32_u32 s2, s18
	s_cvt_f32_u32 s21, s19
	s_sub_nc_u64 s[24:25], 0, s[18:19]
	s_wait_alu 0xfffe
	s_delay_alu instid0(SALU_CYCLE_1) | instskip(SKIP_1) | instid1(SALU_CYCLE_2)
	s_fmamk_f32 s2, s21, 0x4f800000, s2
	s_wait_alu 0xfffe
	v_s_rcp_f32 s2, s2
	s_delay_alu instid0(TRANS32_DEP_1) | instskip(SKIP_1) | instid1(SALU_CYCLE_2)
	s_mul_f32 s2, s2, 0x5f7ffffc
	s_wait_alu 0xfffe
	s_mul_f32 s21, s2, 0x2f800000
	s_wait_alu 0xfffe
	s_delay_alu instid0(SALU_CYCLE_2) | instskip(SKIP_1) | instid1(SALU_CYCLE_2)
	s_trunc_f32 s21, s21
	s_wait_alu 0xfffe
	s_fmamk_f32 s2, s21, 0xcf800000, s2
	s_cvt_u32_f32 s23, s21
	s_wait_alu 0xfffe
	s_delay_alu instid0(SALU_CYCLE_1) | instskip(SKIP_1) | instid1(SALU_CYCLE_2)
	s_cvt_u32_f32 s22, s2
	s_wait_alu 0xfffe
	s_mul_u64 s[26:27], s[24:25], s[22:23]
	s_wait_alu 0xfffe
	s_mul_hi_u32 s29, s22, s27
	s_mul_i32 s28, s22, s27
	s_mul_hi_u32 s2, s22, s26
	s_mul_i32 s30, s23, s26
	s_wait_alu 0xfffe
	s_add_nc_u64 s[28:29], s[2:3], s[28:29]
	s_mul_hi_u32 s21, s23, s26
	s_mul_hi_u32 s31, s23, s27
	s_add_co_u32 s2, s28, s30
	s_wait_alu 0xfffe
	s_add_co_ci_u32 s2, s29, s21
	s_mul_i32 s26, s23, s27
	s_add_co_ci_u32 s27, s31, 0
	s_wait_alu 0xfffe
	s_add_nc_u64 s[26:27], s[2:3], s[26:27]
	s_wait_alu 0xfffe
	v_add_co_u32 v4, s2, s22, s26
	s_delay_alu instid0(VALU_DEP_1) | instskip(SKIP_1) | instid1(VALU_DEP_1)
	s_cmp_lg_u32 s2, 0
	s_add_co_ci_u32 s23, s23, s27
	v_readfirstlane_b32 s22, v4
	s_wait_alu 0xfffe
	s_delay_alu instid0(VALU_DEP_1)
	s_mul_u64 s[24:25], s[24:25], s[22:23]
	s_wait_alu 0xfffe
	s_mul_hi_u32 s27, s22, s25
	s_mul_i32 s26, s22, s25
	s_mul_hi_u32 s2, s22, s24
	s_mul_i32 s28, s23, s24
	s_wait_alu 0xfffe
	s_add_nc_u64 s[26:27], s[2:3], s[26:27]
	s_mul_hi_u32 s21, s23, s24
	s_mul_hi_u32 s22, s23, s25
	s_wait_alu 0xfffe
	s_add_co_u32 s2, s26, s28
	s_add_co_ci_u32 s2, s27, s21
	s_mul_i32 s24, s23, s25
	s_add_co_ci_u32 s25, s22, 0
	s_wait_alu 0xfffe
	s_add_nc_u64 s[24:25], s[2:3], s[24:25]
	s_wait_alu 0xfffe
	v_add_co_u32 v4, s2, v4, s24
	s_delay_alu instid0(VALU_DEP_1) | instskip(SKIP_1) | instid1(VALU_DEP_1)
	s_cmp_lg_u32 s2, 0
	s_add_co_ci_u32 s2, s23, s25
	v_mul_hi_u32 v14, v5, v4
	s_wait_alu 0xfffe
	v_mad_co_u64_u32 v[7:8], null, v5, s2, 0
	v_mad_co_u64_u32 v[10:11], null, v6, v4, 0
	;; [unrolled: 1-line block ×3, first 2 shown]
	s_delay_alu instid0(VALU_DEP_3) | instskip(SKIP_1) | instid1(VALU_DEP_4)
	v_add_co_u32 v4, vcc_lo, v14, v7
	s_wait_alu 0xfffd
	v_add_co_ci_u32_e32 v7, vcc_lo, 0, v8, vcc_lo
	s_delay_alu instid0(VALU_DEP_2) | instskip(SKIP_1) | instid1(VALU_DEP_2)
	v_add_co_u32 v4, vcc_lo, v4, v10
	s_wait_alu 0xfffd
	v_add_co_ci_u32_e32 v4, vcc_lo, v7, v11, vcc_lo
	s_wait_alu 0xfffd
	v_add_co_ci_u32_e32 v7, vcc_lo, 0, v13, vcc_lo
	s_delay_alu instid0(VALU_DEP_2) | instskip(SKIP_1) | instid1(VALU_DEP_2)
	v_add_co_u32 v4, vcc_lo, v4, v12
	s_wait_alu 0xfffd
	v_add_co_ci_u32_e32 v10, vcc_lo, 0, v7, vcc_lo
	s_delay_alu instid0(VALU_DEP_2) | instskip(SKIP_1) | instid1(VALU_DEP_3)
	v_mul_lo_u32 v11, s19, v4
	v_mad_co_u64_u32 v[7:8], null, s18, v4, 0
	v_mul_lo_u32 v12, s18, v10
	s_delay_alu instid0(VALU_DEP_2) | instskip(NEXT) | instid1(VALU_DEP_2)
	v_sub_co_u32 v7, vcc_lo, v5, v7
	v_add3_u32 v8, v8, v12, v11
	s_delay_alu instid0(VALU_DEP_1) | instskip(SKIP_1) | instid1(VALU_DEP_1)
	v_sub_nc_u32_e32 v11, v6, v8
	s_wait_alu 0xfffd
	v_subrev_co_ci_u32_e64 v11, s2, s19, v11, vcc_lo
	v_add_co_u32 v12, s2, v4, 2
	s_wait_alu 0xf1ff
	v_add_co_ci_u32_e64 v13, s2, 0, v10, s2
	v_sub_co_u32 v14, s2, v7, s18
	v_sub_co_ci_u32_e32 v8, vcc_lo, v6, v8, vcc_lo
	s_wait_alu 0xf1ff
	v_subrev_co_ci_u32_e64 v11, s2, 0, v11, s2
	s_delay_alu instid0(VALU_DEP_3) | instskip(NEXT) | instid1(VALU_DEP_3)
	v_cmp_le_u32_e32 vcc_lo, s18, v14
	v_cmp_eq_u32_e64 s2, s19, v8
	s_wait_alu 0xfffd
	v_cndmask_b32_e64 v14, 0, -1, vcc_lo
	v_cmp_le_u32_e32 vcc_lo, s19, v11
	s_wait_alu 0xfffd
	v_cndmask_b32_e64 v15, 0, -1, vcc_lo
	v_cmp_le_u32_e32 vcc_lo, s18, v7
	;; [unrolled: 3-line block ×3, first 2 shown]
	s_wait_alu 0xfffd
	v_cndmask_b32_e64 v16, 0, -1, vcc_lo
	v_cmp_eq_u32_e32 vcc_lo, s19, v11
	s_wait_alu 0xf1ff
	s_delay_alu instid0(VALU_DEP_2)
	v_cndmask_b32_e64 v7, v16, v7, s2
	s_wait_alu 0xfffd
	v_cndmask_b32_e32 v11, v15, v14, vcc_lo
	v_add_co_u32 v14, vcc_lo, v4, 1
	s_wait_alu 0xfffd
	v_add_co_ci_u32_e32 v15, vcc_lo, 0, v10, vcc_lo
	s_delay_alu instid0(VALU_DEP_3) | instskip(SKIP_1) | instid1(VALU_DEP_2)
	v_cmp_ne_u32_e32 vcc_lo, 0, v11
	s_wait_alu 0xfffd
	v_dual_cndmask_b32 v8, v15, v13 :: v_dual_cndmask_b32 v11, v14, v12
	v_cmp_ne_u32_e32 vcc_lo, 0, v7
	s_wait_alu 0xfffd
	s_delay_alu instid0(VALU_DEP_2)
	v_dual_cndmask_b32 v8, v10, v8 :: v_dual_cndmask_b32 v7, v4, v11
.LBB0_4:                                ;   in Loop: Header=BB0_2 Depth=1
	s_wait_alu 0xfffe
	s_and_not1_saveexec_b32 s2, s20
	s_cbranch_execz .LBB0_6
; %bb.5:                                ;   in Loop: Header=BB0_2 Depth=1
	v_cvt_f32_u32_e32 v4, s18
	s_sub_co_i32 s20, 0, s18
	s_delay_alu instid0(VALU_DEP_1) | instskip(NEXT) | instid1(TRANS32_DEP_1)
	v_rcp_iflag_f32_e32 v4, v4
	v_mul_f32_e32 v4, 0x4f7ffffe, v4
	s_delay_alu instid0(VALU_DEP_1) | instskip(SKIP_1) | instid1(VALU_DEP_1)
	v_cvt_u32_f32_e32 v4, v4
	s_wait_alu 0xfffe
	v_mul_lo_u32 v7, s20, v4
	s_delay_alu instid0(VALU_DEP_1) | instskip(NEXT) | instid1(VALU_DEP_1)
	v_mul_hi_u32 v7, v4, v7
	v_add_nc_u32_e32 v4, v4, v7
	s_delay_alu instid0(VALU_DEP_1) | instskip(NEXT) | instid1(VALU_DEP_1)
	v_mul_hi_u32 v4, v5, v4
	v_mul_lo_u32 v7, v4, s18
	v_add_nc_u32_e32 v8, 1, v4
	s_delay_alu instid0(VALU_DEP_2) | instskip(NEXT) | instid1(VALU_DEP_1)
	v_sub_nc_u32_e32 v7, v5, v7
	v_subrev_nc_u32_e32 v10, s18, v7
	v_cmp_le_u32_e32 vcc_lo, s18, v7
	s_wait_alu 0xfffd
	s_delay_alu instid0(VALU_DEP_2) | instskip(NEXT) | instid1(VALU_DEP_1)
	v_dual_cndmask_b32 v7, v7, v10 :: v_dual_cndmask_b32 v4, v4, v8
	v_cmp_le_u32_e32 vcc_lo, s18, v7
	s_delay_alu instid0(VALU_DEP_2) | instskip(SKIP_1) | instid1(VALU_DEP_1)
	v_add_nc_u32_e32 v8, 1, v4
	s_wait_alu 0xfffd
	v_dual_cndmask_b32 v7, v4, v8 :: v_dual_mov_b32 v8, v3
.LBB0_6:                                ;   in Loop: Header=BB0_2 Depth=1
	s_wait_alu 0xfffe
	s_or_b32 exec_lo, exec_lo, s2
	s_load_b64 s[20:21], s[12:13], 0x0
	s_delay_alu instid0(VALU_DEP_1)
	v_mul_lo_u32 v4, v8, s18
	v_mul_lo_u32 v12, v7, s19
	v_mad_co_u64_u32 v[10:11], null, v7, s18, 0
	s_add_nc_u64 s[14:15], s[14:15], 1
	s_add_nc_u64 s[12:13], s[12:13], 8
	s_wait_alu 0xfffe
	v_cmp_ge_u64_e64 s2, s[14:15], s[6:7]
	s_add_nc_u64 s[16:17], s[16:17], 8
	s_delay_alu instid0(VALU_DEP_2) | instskip(NEXT) | instid1(VALU_DEP_3)
	v_add3_u32 v4, v11, v12, v4
	v_sub_co_u32 v5, vcc_lo, v5, v10
	s_wait_alu 0xfffd
	s_delay_alu instid0(VALU_DEP_2) | instskip(SKIP_3) | instid1(VALU_DEP_2)
	v_sub_co_ci_u32_e32 v4, vcc_lo, v6, v4, vcc_lo
	s_and_b32 vcc_lo, exec_lo, s2
	s_wait_kmcnt 0x0
	v_mul_lo_u32 v6, s21, v5
	v_mul_lo_u32 v4, s20, v4
	v_mad_co_u64_u32 v[1:2], null, s20, v5, v[1:2]
	s_delay_alu instid0(VALU_DEP_1)
	v_add3_u32 v2, v6, v2, v4
	s_wait_alu 0xfffe
	s_cbranch_vccnz .LBB0_9
; %bb.7:                                ;   in Loop: Header=BB0_2 Depth=1
	v_dual_mov_b32 v5, v7 :: v_dual_mov_b32 v6, v8
	s_branch .LBB0_2
.LBB0_8:
	v_dual_mov_b32 v8, v6 :: v_dual_mov_b32 v7, v5
.LBB0_9:
	s_lshl_b64 s[2:3], s[6:7], 3
	v_mul_hi_u32 v3, 0x4bda130, v0
	s_wait_alu 0xfffe
	s_add_nc_u64 s[2:3], s[10:11], s[2:3]
	s_load_b64 s[0:1], s[0:1], 0x20
	s_load_b64 s[2:3], s[2:3], 0x0
	s_delay_alu instid0(VALU_DEP_1) | instskip(NEXT) | instid1(VALU_DEP_1)
	v_mul_u32_u24_e32 v3, 54, v3
	v_sub_nc_u32_e32 v48, v0, v3
	s_delay_alu instid0(VALU_DEP_1)
	v_add_nc_u32_e32 v56, 54, v48
	v_add_nc_u32_e32 v54, 0x6c, v48
	;; [unrolled: 1-line block ×3, first 2 shown]
	s_wait_kmcnt 0x0
	v_cmp_gt_u64_e32 vcc_lo, s[0:1], v[7:8]
	v_mul_lo_u32 v3, s2, v8
	v_mul_lo_u32 v4, s3, v7
	v_mad_co_u64_u32 v[0:1], null, s2, v7, v[1:2]
	v_cmp_le_u64_e64 s0, s[0:1], v[7:8]
	v_and_b32_e32 v2, 3, v9
	s_delay_alu instid0(VALU_DEP_3) | instskip(NEXT) | instid1(VALU_DEP_3)
	v_add3_u32 v1, v4, v1, v3
	s_and_saveexec_b32 s1, s0
	s_wait_alu 0xfffe
	s_xor_b32 s0, exec_lo, s1
; %bb.10:
	v_add_nc_u32_e32 v56, 54, v48
	v_add_nc_u32_e32 v54, 0x6c, v48
	;; [unrolled: 1-line block ×3, first 2 shown]
; %bb.11:
	s_wait_alu 0xfffe
	s_or_saveexec_b32 s1, s0
	v_mul_u32_u24_e32 v2, 0x21d, v2
	v_lshlrev_b64_e32 v[50:51], 4, v[0:1]
	v_lshlrev_b32_e32 v53, 4, v48
	s_delay_alu instid0(VALU_DEP_3)
	v_lshlrev_b32_e32 v55, 4, v2
	s_wait_alu 0xfffe
	s_xor_b32 exec_lo, exec_lo, s1
	s_cbranch_execz .LBB0_13
; %bb.12:
	v_mov_b32_e32 v49, 0
	v_add_co_u32 v2, s0, s8, v50
	s_wait_alu 0xf1ff
	v_add_co_ci_u32_e64 v3, s0, s9, v51, s0
	s_delay_alu instid0(VALU_DEP_3) | instskip(SKIP_1) | instid1(VALU_DEP_2)
	v_lshlrev_b64_e32 v[0:1], 4, v[48:49]
	v_add3_u32 v40, 0, v55, v53
	v_add_co_u32 v36, s0, v2, v0
	s_wait_alu 0xf1ff
	s_delay_alu instid0(VALU_DEP_3)
	v_add_co_ci_u32_e64 v37, s0, v3, v1, s0
	s_clause 0x9
	global_load_b128 v[0:3], v[36:37], off
	global_load_b128 v[4:7], v[36:37], off offset:864
	global_load_b128 v[8:11], v[36:37], off offset:1728
	;; [unrolled: 1-line block ×9, first 2 shown]
	s_wait_loadcnt 0x9
	ds_store_b128 v40, v[0:3]
	s_wait_loadcnt 0x8
	ds_store_b128 v40, v[4:7] offset:864
	s_wait_loadcnt 0x7
	ds_store_b128 v40, v[8:11] offset:1728
	;; [unrolled: 2-line block ×9, first 2 shown]
.LBB0_13:
	s_or_b32 exec_lo, exec_lo, s1
	v_add3_u32 v49, 0, v53, v55
	global_wb scope:SCOPE_SE
	s_wait_dscnt 0x0
	s_barrier_signal -1
	s_barrier_wait -1
	global_inv scope:SCOPE_SE
	ds_load_b128 v[0:3], v49 offset:5760
	ds_load_b128 v[4:7], v49 offset:2880
	;; [unrolled: 1-line block ×8, first 2 shown]
	v_add_nc_u32_e32 v60, 0, v55
	ds_load_b128 v[36:39], v49 offset:1728
	s_mov_b32 s0, 0xe8584caa
	s_mov_b32 s1, 0x3febb67a
	;; [unrolled: 1-line block ×3, first 2 shown]
	v_add_nc_u32_e32 v59, v60, v53
	ds_load_b128 v[40:43], v59
	ds_load_b128 v[44:47], v49 offset:864
	ds_load_b128 v[16:19], v49 offset:2592
	s_wait_alu 0xfffe
	s_mov_b32 s2, s0
	global_wb scope:SCOPE_SE
	s_wait_dscnt 0x0
	v_add_f64_e32 v[61:62], v[6:7], v[2:3]
	v_add_f64_e32 v[57:58], v[4:5], v[0:1]
	;; [unrolled: 1-line block ×8, first 2 shown]
	v_add_f64_e64 v[75:76], v[6:7], -v[2:3]
	v_add_f64_e64 v[93:94], v[10:11], -v[14:15]
	;; [unrolled: 1-line block ×3, first 2 shown]
	v_add_f64_e32 v[77:78], v[36:37], v[32:33]
	v_add_f64_e32 v[79:80], v[38:39], v[34:35]
	v_add_f64_e64 v[87:88], v[34:35], -v[30:31]
	v_add_f64_e64 v[89:90], v[32:33], -v[28:29]
	v_add_f64_e32 v[81:82], v[40:41], v[4:5]
	v_add_f64_e32 v[6:7], v[42:43], v[6:7]
	v_add_f64_e64 v[4:5], v[4:5], -v[0:1]
	v_add_f64_e32 v[83:84], v[44:45], v[20:21]
	v_add_f64_e32 v[85:86], v[46:47], v[22:23]
	v_add_f64_e64 v[20:21], v[20:21], -v[24:25]
	s_barrier_signal -1
	s_barrier_wait -1
	global_inv scope:SCOPE_SE
	v_fma_f64 v[42:43], v[61:62], -0.5, v[42:43]
	v_fma_f64 v[40:41], v[57:58], -0.5, v[40:41]
	v_add_f64_e64 v[57:58], v[22:23], -v[26:27]
	v_fma_f64 v[61:62], v[63:64], -0.5, v[44:45]
	v_fma_f64 v[63:64], v[65:66], -0.5, v[46:47]
	;; [unrolled: 1-line block ×6, first 2 shown]
	v_add_f64_e32 v[28:29], v[77:78], v[28:29]
	v_add_f64_e32 v[30:31], v[79:80], v[30:31]
	v_add_f64_e32 v[32:33], v[81:82], v[0:1]
	v_add_f64_e32 v[34:35], v[6:7], v[2:3]
	v_add_f64_e32 v[22:23], v[83:84], v[24:25]
	v_add_f64_e32 v[24:25], v[85:86], v[26:27]
	v_lshl_add_u32 v26, v48, 5, v49
	s_wait_alu 0xfffe
	v_fma_f64 v[38:39], v[4:5], s[2:3], v[42:43]
	v_fma_f64 v[42:43], v[4:5], s[0:1], v[42:43]
	;; [unrolled: 1-line block ×16, first 2 shown]
	v_mad_i32_i24 v21, v56, 48, 0
	v_mad_i32_i24 v20, v54, 48, 0
	v_cmp_gt_u32_e64 s0, 18, v48
	s_delay_alu instid0(VALU_DEP_3) | instskip(NEXT) | instid1(VALU_DEP_3)
	v_add_nc_u32_e32 v27, v21, v55
	v_add_nc_u32_e32 v57, v20, v55
	ds_store_b128 v26, v[32:35]
	ds_store_b128 v26, v[36:39] offset:16
	ds_store_b128 v26, v[40:43] offset:32
	ds_store_b128 v27, v[22:25]
	ds_store_b128 v27, v[44:47] offset:16
	ds_store_b128 v27, v[61:64] offset:32
	;; [unrolled: 3-line block ×3, first 2 shown]
	s_and_saveexec_b32 s1, s0
	s_cbranch_execz .LBB0_15
; %bb.14:
	v_add_f64_e32 v[10:11], v[18:19], v[10:11]
	v_add_f64_e32 v[8:9], v[16:17], v[8:9]
	s_delay_alu instid0(VALU_DEP_2) | instskip(NEXT) | instid1(VALU_DEP_2)
	v_add_f64_e32 v[10:11], v[10:11], v[14:15]
	v_add_f64_e32 v[8:9], v[8:9], v[12:13]
	v_mul_i32_i24_e32 v12, 48, v52
	s_delay_alu instid0(VALU_DEP_1)
	v_add3_u32 v12, 0, v12, v55
	ds_store_b128 v12, v[8:11]
	ds_store_b128 v12, v[0:3] offset:16
	ds_store_b128 v12, v[4:7] offset:32
.LBB0_15:
	s_wait_alu 0xfffe
	s_or_b32 exec_lo, exec_lo, s1
	v_and_b32_e32 v8, 0xff, v48
	global_wb scope:SCOPE_SE
	s_wait_dscnt 0x0
	s_barrier_signal -1
	s_barrier_wait -1
	global_inv scope:SCOPE_SE
	v_mul_lo_u16 v8, 0xab, v8
	s_mov_b32 s6, 0x134454ff
	s_mov_b32 s7, 0x3fee6f0e
	;; [unrolled: 1-line block ×3, first 2 shown]
	s_wait_alu 0xfffe
	s_mov_b32 s2, s6
	v_lshrrev_b16 v16, 9, v8
	s_mov_b32 s12, 0x4755a5e
	s_mov_b32 s13, 0x3fe2cf23
	;; [unrolled: 1-line block ×4, first 2 shown]
	v_mul_lo_u16 v8, v16, 3
	s_mov_b32 s14, 0x372fe950
	s_mov_b32 s15, 0x3fd3c6ef
	;; [unrolled: 1-line block ×4, first 2 shown]
	v_sub_nc_u16 v8, v48, v8
	v_and_b32_e32 v16, 0xffff, v16
	v_cmp_gt_u32_e64 s1, 36, v48
	s_delay_alu instid0(VALU_DEP_3) | instskip(NEXT) | instid1(VALU_DEP_3)
	v_and_b32_e32 v17, 0xff, v8
	v_mad_u32_u24 v16, 0x1e0, v16, 0
	s_delay_alu instid0(VALU_DEP_2) | instskip(SKIP_1) | instid1(VALU_DEP_2)
	v_mul_u32_u24_e32 v8, 9, v17
	v_lshlrev_b32_e32 v17, 4, v17
	v_lshlrev_b32_e32 v18, 4, v8
	s_delay_alu instid0(VALU_DEP_2)
	v_add3_u32 v16, v16, v17, v55
	s_clause 0x8
	global_load_b128 v[8:11], v18, s[4:5] offset:32
	global_load_b128 v[12:15], v18, s[4:5] offset:64
	;; [unrolled: 1-line block ×4, first 2 shown]
	global_load_b128 v[30:33], v18, s[4:5]
	global_load_b128 v[34:37], v18, s[4:5] offset:16
	global_load_b128 v[38:41], v18, s[4:5] offset:48
	;; [unrolled: 1-line block ×4, first 2 shown]
	v_lshlrev_b32_e32 v18, 4, v52
	s_delay_alu instid0(VALU_DEP_1)
	v_add3_u32 v57, 0, v18, v55
	v_lshlrev_b32_e32 v18, 5, v56
	ds_load_b128 v[67:70], v57
	ds_load_b128 v[71:74], v49 offset:4320
	ds_load_b128 v[75:78], v49 offset:6048
	;; [unrolled: 1-line block ×3, first 2 shown]
	v_sub_nc_u32_e32 v18, v21, v18
	s_delay_alu instid0(VALU_DEP_1) | instskip(SKIP_3) | instid1(VALU_DEP_1)
	v_add_nc_u32_e32 v61, v18, v55
	v_lshlrev_b32_e32 v18, 5, v54
	ds_load_b128 v[83:86], v61
	v_sub_nc_u32_e32 v18, v20, v18
	v_add_nc_u32_e32 v62, v18, v55
	ds_load_b128 v[18:21], v62
	s_wait_loadcnt_dscnt 0x805
	v_mul_f64_e32 v[46:47], v[69:70], v[10:11]
	v_mul_f64_e32 v[10:11], v[67:68], v[10:11]
	s_wait_loadcnt_dscnt 0x704
	v_mul_f64_e32 v[87:88], v[73:74], v[14:15]
	v_mul_f64_e32 v[14:15], v[71:72], v[14:15]
	s_wait_loadcnt_dscnt 0x603
	v_mul_f64_e32 v[89:90], v[75:76], v[24:25]
	s_wait_loadcnt_dscnt 0x502
	v_mul_f64_e32 v[91:92], v[79:80], v[28:29]
	v_mul_f64_e32 v[24:25], v[77:78], v[24:25]
	;; [unrolled: 1-line block ×3, first 2 shown]
	s_wait_loadcnt_dscnt 0x401
	v_mul_f64_e32 v[93:94], v[85:86], v[32:33]
	v_mul_f64_e32 v[32:33], v[83:84], v[32:33]
	v_fma_f64 v[46:47], v[67:68], v[8:9], -v[46:47]
	v_fma_f64 v[67:68], v[69:70], v[8:9], v[10:11]
	v_fma_f64 v[69:70], v[71:72], v[12:13], -v[87:88]
	v_fma_f64 v[71:72], v[73:74], v[12:13], v[14:15]
	v_fma_f64 v[73:74], v[77:78], v[22:23], v[89:90]
	;; [unrolled: 1-line block ×3, first 2 shown]
	v_fma_f64 v[75:76], v[75:76], v[22:23], -v[24:25]
	v_fma_f64 v[79:80], v[79:80], v[26:27], -v[28:29]
	ds_load_b128 v[8:11], v49 offset:3456
	ds_load_b128 v[12:15], v49 offset:5184
	;; [unrolled: 1-line block ×3, first 2 shown]
	ds_load_b128 v[26:29], v59
	s_wait_loadcnt_dscnt 0x304
	v_mul_f64_e32 v[81:82], v[20:21], v[36:37]
	v_mul_f64_e32 v[36:37], v[18:19], v[36:37]
	v_fma_f64 v[83:84], v[83:84], v[30:31], -v[93:94]
	v_fma_f64 v[30:31], v[85:86], v[30:31], v[32:33]
	global_wb scope:SCOPE_SE
	s_wait_loadcnt_dscnt 0x0
	s_barrier_signal -1
	s_barrier_wait -1
	global_inv scope:SCOPE_SE
	v_mul_f64_e32 v[87:88], v[10:11], v[40:41]
	v_mul_f64_e32 v[40:41], v[8:9], v[40:41]
	;; [unrolled: 1-line block ×6, first 2 shown]
	v_add_f64_e64 v[97:98], v[67:68], -v[71:72]
	v_add_f64_e32 v[32:33], v[71:72], v[73:74]
	v_add_f64_e32 v[85:86], v[67:68], v[77:78]
	;; [unrolled: 1-line block ×4, first 2 shown]
	v_add_f64_e64 v[99:100], v[77:78], -v[73:74]
	v_fma_f64 v[18:19], v[18:19], v[34:35], -v[81:82]
	v_fma_f64 v[20:21], v[20:21], v[34:35], v[36:37]
	v_add_f64_e64 v[34:35], v[67:68], -v[77:78]
	v_add_f64_e64 v[36:37], v[71:72], -v[73:74]
	;; [unrolled: 1-line block ×4, first 2 shown]
	v_fma_f64 v[8:9], v[8:9], v[38:39], -v[87:88]
	v_fma_f64 v[10:11], v[10:11], v[38:39], v[40:41]
	v_fma_f64 v[12:13], v[12:13], v[42:43], -v[89:90]
	v_fma_f64 v[22:23], v[22:23], v[63:64], -v[91:92]
	v_fma_f64 v[14:15], v[14:15], v[42:43], v[44:45]
	v_fma_f64 v[24:25], v[24:25], v[63:64], v[65:66]
	v_add_f64_e64 v[38:39], v[46:47], -v[79:80]
	v_add_f64_e64 v[40:41], v[69:70], -v[75:76]
	;; [unrolled: 1-line block ×4, first 2 shown]
	v_fma_f64 v[32:33], v[32:33], -0.5, v[30:31]
	v_fma_f64 v[42:43], v[85:86], -0.5, v[30:31]
	;; [unrolled: 1-line block ×4, first 2 shown]
	v_add_f64_e64 v[93:94], v[69:70], -v[46:47]
	v_add_f64_e64 v[95:96], v[75:76], -v[79:80]
	v_add_f64_e32 v[113:114], v[26:27], v[18:19]
	v_add_f64_e32 v[115:116], v[28:29], v[20:21]
	;; [unrolled: 1-line block ×8, first 2 shown]
	v_add_f64_e64 v[117:118], v[8:9], -v[12:13]
	v_add_f64_e64 v[67:68], v[10:11], -v[14:15]
	;; [unrolled: 1-line block ×4, first 2 shown]
	s_wait_alu 0xfffe
	v_fma_f64 v[105:106], v[38:39], s[2:3], v[32:33]
	v_fma_f64 v[107:108], v[40:41], s[6:7], v[42:43]
	;; [unrolled: 1-line block ×8, first 2 shown]
	v_add_f64_e32 v[30:31], v[30:31], v[71:72]
	v_add_f64_e32 v[46:47], v[46:47], v[69:70]
	v_fma_f64 v[65:66], v[65:66], -0.5, v[26:27]
	v_fma_f64 v[26:27], v[81:82], -0.5, v[26:27]
	;; [unrolled: 1-line block ×4, first 2 shown]
	v_add_f64_e32 v[85:86], v[89:90], v[91:92]
	v_add_f64_e32 v[87:88], v[93:94], v[95:96]
	;; [unrolled: 1-line block ×4, first 2 shown]
	v_add_f64_e64 v[101:102], v[24:25], -v[14:15]
	v_add_f64_e64 v[103:104], v[14:15], -v[24:25]
	v_fma_f64 v[93:94], v[40:41], s[10:11], v[105:106]
	v_fma_f64 v[95:96], v[38:39], s[10:11], v[107:108]
	;; [unrolled: 1-line block ×8, first 2 shown]
	v_add_f64_e64 v[40:41], v[18:19], -v[8:9]
	v_add_f64_e64 v[18:19], v[8:9], -v[18:19]
	v_add_f64_e64 v[63:64], v[20:21], -v[10:11]
	v_add_f64_e64 v[20:21], v[10:11], -v[20:21]
	v_add_f64_e32 v[8:9], v[113:114], v[8:9]
	v_add_f64_e32 v[10:11], v[115:116], v[10:11]
	v_add_f64_e64 v[42:43], v[22:23], -v[12:13]
	v_add_f64_e64 v[44:45], v[12:13], -v[22:23]
	v_fma_f64 v[69:70], v[83:84], s[6:7], v[65:66]
	v_fma_f64 v[65:66], v[83:84], s[2:3], v[65:66]
	;; [unrolled: 1-line block ×16, first 2 shown]
	v_add_f64_e32 v[20:21], v[20:21], v[103:104]
	v_add_f64_e32 v[8:9], v[8:9], v[12:13]
	;; [unrolled: 1-line block ×8, first 2 shown]
	v_fma_f64 v[30:31], v[67:68], s[12:13], v[69:70]
	v_fma_f64 v[44:45], v[67:68], s[10:11], v[65:66]
	v_fma_f64 v[46:47], v[83:84], s[12:13], v[71:72]
	v_fma_f64 v[63:64], v[117:118], s[10:11], v[105:106]
	v_fma_f64 v[65:66], v[117:118], s[12:13], v[81:82]
	v_fma_f64 v[67:68], v[119:120], s[10:11], v[107:108]
	v_fma_f64 v[28:29], v[119:120], s[12:13], v[28:29]
	v_fma_f64 v[26:27], v[83:84], s[10:11], v[26:27]
	v_mul_f64_e32 v[69:70], s[12:13], v[93:94]
	v_mul_f64_e32 v[71:72], s[6:7], v[95:96]
	v_mul_f64_e32 v[75:76], s[16:17], v[99:100]
	v_mul_f64_e32 v[81:82], s[10:11], v[36:37]
	v_mul_f64_e32 v[73:74], s[14:15], v[97:98]
	v_mul_f64_e32 v[83:84], s[2:3], v[34:35]
	v_mul_f64_e32 v[85:86], s[14:15], v[38:39]
	v_mul_f64_e32 v[87:88], s[16:17], v[32:33]
	v_add_f64_e32 v[8:9], v[8:9], v[22:23]
	v_add_f64_e32 v[10:11], v[10:11], v[24:25]
	;; [unrolled: 1-line block ×4, first 2 shown]
	v_fma_f64 v[22:23], v[40:41], s[14:15], v[30:31]
	v_fma_f64 v[77:78], v[40:41], s[14:15], v[44:45]
	;; [unrolled: 1-line block ×10, first 2 shown]
	v_fma_f64 v[32:33], v[32:33], s[12:13], -v[75:76]
	v_fma_f64 v[71:72], v[93:94], s[16:17], v[81:82]
	v_fma_f64 v[69:70], v[38:39], s[6:7], -v[73:74]
	v_fma_f64 v[73:74], v[95:96], s[14:15], v[83:84]
	v_fma_f64 v[75:76], v[97:98], s[2:3], -v[85:86]
	v_fma_f64 v[81:82], v[99:100], s[10:11], -v[87:88]
	v_add_f64_e32 v[24:25], v[8:9], v[12:13]
	v_add_f64_e32 v[26:27], v[10:11], v[14:15]
	v_add_f64_e64 v[28:29], v[8:9], -v[12:13]
	v_add_f64_e64 v[30:31], v[10:11], -v[14:15]
	v_add_f64_e32 v[36:37], v[22:23], v[20:21]
	v_add_f64_e32 v[40:41], v[79:80], v[34:35]
	;; [unrolled: 1-line block ×8, first 2 shown]
	v_add_f64_e64 v[8:9], v[22:23], -v[20:21]
	v_add_f64_e64 v[10:11], v[89:90], -v[71:72]
	;; [unrolled: 1-line block ×8, first 2 shown]
	ds_store_b128 v16, v[24:27]
	ds_store_b128 v16, v[36:39] offset:48
	ds_store_b128 v16, v[40:43] offset:96
	;; [unrolled: 1-line block ×9, first 2 shown]
	global_wb scope:SCOPE_SE
	s_wait_dscnt 0x0
	s_barrier_signal -1
	s_barrier_wait -1
	global_inv scope:SCOPE_SE
	ds_load_b128 v[16:19], v59
	ds_load_b128 v[36:39], v49 offset:1440
	ds_load_b128 v[24:27], v49 offset:2880
	;; [unrolled: 1-line block ×5, first 2 shown]
	s_and_saveexec_b32 s2, s1
	s_cbranch_execz .LBB0_17
; %bb.16:
	ds_load_b128 v[20:23], v49 offset:2304
	ds_load_b128 v[12:15], v49 offset:3744
	;; [unrolled: 1-line block ×4, first 2 shown]
	ds_load_b128 v[8:11], v61
	ds_load_b128 v[4:7], v49 offset:8064
.LBB0_17:
	s_wait_alu 0xfffe
	s_or_b32 exec_lo, exec_lo, s2
	v_and_b32_e32 v58, 0xff, v56
	v_subrev_nc_u32_e32 v63, 30, v48
	v_cmp_gt_u32_e64 s2, 30, v48
	s_mov_b32 s7, 0xbfebb67a
	s_delay_alu instid0(VALU_DEP_3) | instskip(SKIP_1) | instid1(VALU_DEP_2)
	v_mul_lo_u16 v58, 0x89, v58
	s_wait_alu 0xf1ff
	v_cndmask_b32_e64 v114, v63, v48, s2
	s_delay_alu instid0(VALU_DEP_2) | instskip(NEXT) | instid1(VALU_DEP_2)
	v_lshrrev_b16 v58, 12, v58
	v_mul_i32_i24_e32 v63, 5, v114
	s_delay_alu instid0(VALU_DEP_2) | instskip(NEXT) | instid1(VALU_DEP_1)
	v_mul_lo_u16 v65, v58, 30
	v_sub_nc_u16 v66, v56, v65
	v_mov_b32_e32 v64, 0
	s_delay_alu instid0(VALU_DEP_1) | instskip(NEXT) | instid1(VALU_DEP_3)
	v_lshlrev_b64_e32 v[64:65], 4, v[63:64]
	v_and_b32_e32 v63, 0xff, v66
	s_delay_alu instid0(VALU_DEP_1) | instskip(NEXT) | instid1(VALU_DEP_3)
	v_mul_u32_u24_e32 v72, 5, v63
	v_add_co_u32 v92, s2, s4, v64
	s_wait_alu 0xf1ff
	s_delay_alu instid0(VALU_DEP_4) | instskip(NEXT) | instid1(VALU_DEP_3)
	v_add_co_ci_u32_e64 v93, s2, s5, v65, s2
	v_lshlrev_b32_e32 v100, 4, v72
	s_clause 0x9
	global_load_b128 v[64:67], v[92:93], off offset:464
	global_load_b128 v[68:71], v[92:93], off offset:496
	global_load_b128 v[72:75], v100, s[4:5] offset:464
	global_load_b128 v[76:79], v100, s[4:5] offset:496
	global_load_b128 v[80:83], v[92:93], off offset:432
	global_load_b128 v[84:87], v100, s[4:5] offset:432
	global_load_b128 v[88:91], v[92:93], off offset:448
	global_load_b128 v[92:95], v[92:93], off offset:480
	global_load_b128 v[96:99], v100, s[4:5] offset:448
	global_load_b128 v[100:103], v100, s[4:5] offset:480
	s_mov_b32 s2, 0xe8584caa
	s_mov_b32 s3, 0x3febb67a
	s_wait_alu 0xfffe
	s_mov_b32 s6, s2
	global_wb scope:SCOPE_SE
	s_wait_loadcnt_dscnt 0x0
	s_barrier_signal -1
	s_barrier_wait -1
	global_inv scope:SCOPE_SE
	v_mul_f64_e32 v[108:109], v[34:35], v[74:75]
	v_mul_f64_e32 v[74:75], v[32:33], v[74:75]
	;; [unrolled: 1-line block ×10, first 2 shown]
	v_fma_f64 v[32:33], v[32:33], v[72:73], -v[108:109]
	v_fma_f64 v[34:35], v[34:35], v[72:73], v[74:75]
	v_fma_f64 v[6:7], v[6:7], v[76:77], v[110:111]
	v_fma_f64 v[4:5], v[4:5], v[76:77], -v[78:79]
	v_fma_f64 v[40:41], v[40:41], v[64:65], -v[104:105]
	v_fma_f64 v[42:43], v[42:43], v[64:65], v[66:67]
	v_fma_f64 v[46:47], v[46:47], v[68:69], v[106:107]
	v_fma_f64 v[44:45], v[44:45], v[68:69], -v[70:71]
	v_mul_f64_e32 v[64:65], v[22:23], v[86:87]
	v_mul_f64_e32 v[66:67], v[20:21], v[86:87]
	;; [unrolled: 1-line block ×6, first 2 shown]
	v_fma_f64 v[36:37], v[36:37], v[80:81], -v[112:113]
	v_fma_f64 v[38:39], v[38:39], v[80:81], v[82:83]
	v_mul_f64_e32 v[80:81], v[14:15], v[98:99]
	v_mul_f64_e32 v[82:83], v[12:13], v[98:99]
	;; [unrolled: 1-line block ×4, first 2 shown]
	v_add_f64_e32 v[76:77], v[42:43], v[46:47]
	v_add_f64_e32 v[78:79], v[40:41], v[44:45]
	v_fma_f64 v[20:21], v[20:21], v[84:85], -v[64:65]
	v_fma_f64 v[22:23], v[22:23], v[84:85], v[66:67]
	v_add_f64_e32 v[64:65], v[34:35], v[6:7]
	v_add_f64_e32 v[66:67], v[32:33], v[4:5]
	v_fma_f64 v[24:25], v[24:25], v[88:89], -v[68:69]
	v_fma_f64 v[26:27], v[26:27], v[88:89], v[70:71]
	v_fma_f64 v[28:29], v[28:29], v[92:93], -v[72:73]
	v_fma_f64 v[30:31], v[30:31], v[92:93], v[74:75]
	v_add_f64_e64 v[68:69], v[42:43], -v[46:47]
	v_add_f64_e64 v[70:71], v[40:41], -v[44:45]
	v_fma_f64 v[12:13], v[12:13], v[96:97], -v[80:81]
	v_fma_f64 v[14:15], v[14:15], v[96:97], v[82:83]
	v_fma_f64 v[0:1], v[0:1], v[100:101], -v[86:87]
	v_fma_f64 v[2:3], v[2:3], v[100:101], v[90:91]
	v_fma_f64 v[72:73], v[76:77], -0.5, v[38:39]
	v_fma_f64 v[74:75], v[78:79], -0.5, v[36:37]
	v_add_f64_e64 v[76:77], v[34:35], -v[6:7]
	v_add_f64_e64 v[78:79], v[32:33], -v[4:5]
	v_fma_f64 v[64:65], v[64:65], -0.5, v[22:23]
	v_fma_f64 v[66:67], v[66:67], -0.5, v[20:21]
	v_add_f64_e32 v[36:37], v[36:37], v[40:41]
	v_add_f64_e32 v[38:39], v[38:39], v[42:43]
	;; [unrolled: 1-line block ×8, first 2 shown]
	v_add_f64_e64 v[34:35], v[14:15], -v[2:3]
	s_wait_alu 0xfffe
	v_fma_f64 v[84:85], v[70:71], s[6:7], v[72:73]
	v_fma_f64 v[86:87], v[68:69], s[6:7], v[74:75]
	;; [unrolled: 1-line block ×4, first 2 shown]
	v_add_f64_e32 v[72:73], v[12:13], v[0:1]
	v_add_f64_e32 v[74:75], v[14:15], v[2:3]
	v_fma_f64 v[88:89], v[78:79], s[6:7], v[64:65]
	v_fma_f64 v[90:91], v[76:77], s[6:7], v[66:67]
	;; [unrolled: 1-line block ×4, first 2 shown]
	v_add_f64_e32 v[76:77], v[16:17], v[24:25]
	v_add_f64_e64 v[78:79], v[26:27], -v[30:31]
	v_add_f64_e32 v[26:27], v[18:19], v[26:27]
	v_fma_f64 v[32:33], v[80:81], -0.5, v[16:17]
	v_add_f64_e64 v[24:25], v[24:25], -v[28:29]
	v_fma_f64 v[18:19], v[82:83], -0.5, v[18:19]
	v_add_f64_e32 v[44:45], v[36:37], v[44:45]
	v_add_f64_e32 v[46:47], v[38:39], v[46:47]
	;; [unrolled: 1-line block ×5, first 2 shown]
	v_mul_f64_e32 v[80:81], s[2:3], v[84:85]
	v_mul_f64_e32 v[82:83], -0.5, v[86:87]
	v_mul_f64_e32 v[92:93], s[6:7], v[68:69]
	v_mul_f64_e32 v[94:95], -0.5, v[70:71]
	v_fma_f64 v[8:9], v[72:73], -0.5, v[8:9]
	v_add_f64_e64 v[72:73], v[12:13], -v[0:1]
	v_fma_f64 v[10:11], v[74:75], -0.5, v[10:11]
	v_mul_f64_e32 v[74:75], s[2:3], v[88:89]
	v_mul_f64_e32 v[96:97], -0.5, v[90:91]
	v_mul_f64_e32 v[98:99], s[6:7], v[66:67]
	v_mul_f64_e32 v[100:101], -0.5, v[64:65]
	v_add_f64_e32 v[76:77], v[76:77], v[28:29]
	v_add_f64_e32 v[102:103], v[26:27], v[30:31]
	;; [unrolled: 1-line block ×3, first 2 shown]
	v_fma_f64 v[4:5], v[78:79], s[2:3], v[32:33]
	v_fma_f64 v[6:7], v[78:79], s[6:7], v[32:33]
	;; [unrolled: 1-line block ×4, first 2 shown]
	v_add_f64_e64 v[2:3], v[16:17], -v[22:23]
	v_fma_f64 v[68:69], v[68:69], 0.5, v[80:81]
	v_fma_f64 v[70:71], v[70:71], s[2:3], v[82:83]
	v_fma_f64 v[80:81], v[84:85], 0.5, v[92:93]
	v_fma_f64 v[82:83], v[86:87], s[6:7], v[94:95]
	v_fma_f64 v[18:19], v[34:35], s[2:3], v[8:9]
	;; [unrolled: 1-line block ×5, first 2 shown]
	v_fma_f64 v[24:25], v[66:67], 0.5, v[74:75]
	v_fma_f64 v[26:27], v[64:65], s[2:3], v[96:97]
	v_fma_f64 v[32:33], v[88:89], 0.5, v[98:99]
	v_fma_f64 v[34:35], v[90:91], s[6:7], v[100:101]
	v_add_f64_e32 v[36:37], v[76:77], v[44:45]
	v_add_f64_e32 v[38:39], v[102:103], v[46:47]
	v_add_f64_e64 v[40:41], v[76:77], -v[44:45]
	v_add_f64_e64 v[0:1], v[12:13], -v[14:15]
	;; [unrolled: 1-line block ×3, first 2 shown]
	v_cmp_lt_u32_e64 s2, 29, v48
	v_lshlrev_b32_e32 v77, 4, v114
	s_wait_alu 0xf1ff
	s_delay_alu instid0(VALU_DEP_2) | instskip(NEXT) | instid1(VALU_DEP_1)
	v_cndmask_b32_e64 v76, 0, 0xb40, s2
	v_add_nc_u32_e32 v76, 0, v76
	s_delay_alu instid0(VALU_DEP_1)
	v_add3_u32 v76, v76, v77, v55
	v_add_f64_e32 v[44:45], v[4:5], v[68:69]
	v_add_f64_e32 v[64:65], v[6:7], v[70:71]
	v_add_f64_e64 v[68:69], v[4:5], -v[68:69]
	v_add_f64_e64 v[72:73], v[6:7], -v[70:71]
	v_add_f64_e32 v[46:47], v[78:79], v[80:81]
	v_add_f64_e32 v[66:67], v[104:105], v[82:83]
	v_add_f64_e64 v[70:71], v[78:79], -v[80:81]
	v_add_f64_e64 v[74:75], v[104:105], -v[82:83]
	;; [unrolled: 1-line block ×6, first 2 shown]
	ds_store_b128 v76, v[36:39]
	ds_store_b128 v76, v[44:47] offset:480
	ds_store_b128 v76, v[64:67] offset:960
	;; [unrolled: 1-line block ×5, first 2 shown]
	s_and_saveexec_b32 s2, s1
	s_cbranch_execz .LBB0_19
; %bb.18:
	v_add_f64_e32 v[16:17], v[16:17], v[22:23]
	v_add_f64_e32 v[14:15], v[12:13], v[14:15]
	;; [unrolled: 1-line block ×6, first 2 shown]
	v_and_b32_e32 v12, 0xffff, v58
	v_lshlrev_b32_e32 v13, 4, v63
	s_delay_alu instid0(VALU_DEP_2) | instskip(NEXT) | instid1(VALU_DEP_1)
	v_mad_u32_u24 v12, 0xb40, v12, 0
	v_add3_u32 v12, v12, v13, v55
	ds_store_b128 v12, v[14:17]
	ds_store_b128 v12, v[32:35] offset:480
	ds_store_b128 v12, v[28:31] offset:960
	;; [unrolled: 1-line block ×5, first 2 shown]
.LBB0_19:
	s_wait_alu 0xfffe
	s_or_b32 exec_lo, exec_lo, s2
	global_wb scope:SCOPE_SE
	s_wait_dscnt 0x0
	s_barrier_signal -1
	s_barrier_wait -1
	global_inv scope:SCOPE_SE
	ds_load_b128 v[16:19], v59
	ds_load_b128 v[32:35], v49 offset:2880
	ds_load_b128 v[36:39], v49 offset:5760
	;; [unrolled: 1-line block ×3, first 2 shown]
	ds_load_b128 v[12:15], v62
	ds_load_b128 v[44:47], v49 offset:3744
	ds_load_b128 v[28:31], v49 offset:4608
	ds_load_b128 v[20:23], v61
	ds_load_b128 v[40:43], v49 offset:7488
	s_and_saveexec_b32 s1, s0
	s_cbranch_execz .LBB0_21
; %bb.20:
	ds_load_b128 v[0:3], v57
	ds_load_b128 v[4:7], v49 offset:5472
	ds_load_b128 v[8:11], v49 offset:8352
.LBB0_21:
	s_wait_alu 0xfffe
	s_or_b32 exec_lo, exec_lo, s1
	v_dual_mov_b32 v58, 0 :: v_dual_lshlrev_b32 v57, 1, v48
	s_mov_b32 s2, 0xe8584caa
	s_mov_b32 s3, 0x3febb67a
	s_wait_alu 0xfffe
	s_mov_b32 s6, s2
	v_lshlrev_b64_e32 v[63:64], 4, v[57:58]
	v_lshlrev_b32_e32 v57, 1, v56
	s_delay_alu instid0(VALU_DEP_1) | instskip(SKIP_1) | instid1(VALU_DEP_4)
	v_lshlrev_b64_e32 v[71:72], 4, v[57:58]
	v_lshlrev_b32_e32 v57, 1, v54
	v_add_co_u32 v67, s1, s4, v63
	s_wait_alu 0xf1ff
	v_add_co_ci_u32_e64 v68, s1, s5, v64, s1
	s_delay_alu instid0(VALU_DEP_3)
	v_lshlrev_b64_e32 v[73:74], 4, v[57:58]
	v_add_co_u32 v75, s1, s4, v71
	s_wait_alu 0xf1ff
	v_add_co_ci_u32_e64 v76, s1, s5, v72, s1
	s_clause 0x1
	global_load_b128 v[63:66], v[67:68], off offset:2848
	global_load_b128 v[67:70], v[67:68], off offset:2832
	v_add_co_u32 v83, s1, s4, v73
	s_wait_alu 0xf1ff
	v_add_co_ci_u32_e64 v84, s1, s5, v74, s1
	s_clause 0x3
	global_load_b128 v[71:74], v[75:76], off offset:2832
	global_load_b128 v[75:78], v[75:76], off offset:2848
	;; [unrolled: 1-line block ×4, first 2 shown]
	global_wb scope:SCOPE_SE
	s_wait_loadcnt_dscnt 0x0
	s_barrier_signal -1
	s_barrier_wait -1
	global_inv scope:SCOPE_SE
	v_mul_f64_e32 v[89:90], v[38:39], v[65:66]
	v_mul_f64_e32 v[87:88], v[34:35], v[69:70]
	;; [unrolled: 1-line block ×12, first 2 shown]
	v_fma_f64 v[36:37], v[36:37], v[63:64], -v[89:90]
	v_fma_f64 v[32:33], v[32:33], v[67:68], -v[87:88]
	v_fma_f64 v[34:35], v[34:35], v[67:68], v[69:70]
	v_fma_f64 v[38:39], v[38:39], v[63:64], v[65:66]
	v_fma_f64 v[44:45], v[44:45], v[71:72], -v[91:92]
	v_fma_f64 v[24:25], v[24:25], v[75:76], -v[93:94]
	v_fma_f64 v[46:47], v[46:47], v[71:72], v[73:74]
	v_fma_f64 v[26:27], v[26:27], v[75:76], v[77:78]
	;; [unrolled: 4-line block ×3, first 2 shown]
	v_add_f64_e32 v[63:64], v[32:33], v[36:37]
	v_add_f64_e32 v[75:76], v[16:17], v[32:33]
	;; [unrolled: 1-line block ×3, first 2 shown]
	v_add_f64_e64 v[77:78], v[34:35], -v[38:39]
	v_add_f64_e32 v[67:68], v[44:45], v[24:25]
	v_add_f64_e32 v[34:35], v[18:19], v[34:35]
	;; [unrolled: 1-line block ×7, first 2 shown]
	v_add_f64_e64 v[32:33], v[32:33], -v[36:37]
	v_add_f64_e64 v[46:47], v[46:47], -v[26:27]
	;; [unrolled: 1-line block ×3, first 2 shown]
	v_add_f64_e32 v[83:84], v[12:13], v[28:29]
	v_add_f64_e32 v[85:86], v[14:15], v[30:31]
	v_add_f64_e64 v[87:88], v[30:31], -v[42:43]
	v_add_f64_e64 v[89:90], v[28:29], -v[40:41]
	v_fma_f64 v[63:64], v[63:64], -0.5, v[16:17]
	v_fma_f64 v[65:66], v[65:66], -0.5, v[18:19]
	v_fma_f64 v[67:68], v[67:68], -0.5, v[20:21]
	v_fma_f64 v[69:70], v[69:70], -0.5, v[22:23]
	v_add_f64_e32 v[16:17], v[79:80], v[24:25]
	v_fma_f64 v[71:72], v[71:72], -0.5, v[12:13]
	v_add_f64_e32 v[12:13], v[75:76], v[36:37]
	v_fma_f64 v[73:74], v[73:74], -0.5, v[14:15]
	v_add_f64_e32 v[14:15], v[34:35], v[38:39]
	v_add_f64_e32 v[18:19], v[81:82], v[26:27]
	;; [unrolled: 1-line block ×4, first 2 shown]
	v_fma_f64 v[24:25], v[77:78], s[2:3], v[63:64]
	s_wait_alu 0xfffe
	v_fma_f64 v[28:29], v[77:78], s[6:7], v[63:64]
	v_fma_f64 v[26:27], v[32:33], s[6:7], v[65:66]
	;; [unrolled: 1-line block ×11, first 2 shown]
	ds_store_b128 v49, v[12:15]
	ds_store_b128 v49, v[24:27] offset:2880
	ds_store_b128 v49, v[28:31] offset:5760
	ds_store_b128 v61, v[16:19]
	ds_store_b128 v61, v[32:35] offset:2880
	ds_store_b128 v61, v[36:39] offset:5760
	;; [unrolled: 3-line block ×3, first 2 shown]
	s_and_saveexec_b32 s1, s0
	s_cbranch_execz .LBB0_23
; %bb.22:
	v_subrev_nc_u32_e32 v12, 18, v48
	s_delay_alu instid0(VALU_DEP_1) | instskip(NEXT) | instid1(VALU_DEP_1)
	v_cndmask_b32_e64 v12, v12, v52, s0
	v_lshlrev_b32_e32 v57, 1, v12
	s_delay_alu instid0(VALU_DEP_1) | instskip(NEXT) | instid1(VALU_DEP_1)
	v_lshlrev_b64_e32 v[12:13], 4, v[57:58]
	v_add_co_u32 v16, s0, s4, v12
	s_wait_alu 0xf1ff
	s_delay_alu instid0(VALU_DEP_2)
	v_add_co_ci_u32_e64 v17, s0, s5, v13, s0
	s_clause 0x1
	global_load_b128 v[12:15], v[16:17], off offset:2832
	global_load_b128 v[16:19], v[16:17], off offset:2848
	s_wait_loadcnt 0x1
	v_mul_f64_e32 v[20:21], v[4:5], v[14:15]
	s_wait_loadcnt 0x0
	v_mul_f64_e32 v[22:23], v[8:9], v[18:19]
	v_mul_f64_e32 v[14:15], v[6:7], v[14:15]
	;; [unrolled: 1-line block ×3, first 2 shown]
	s_delay_alu instid0(VALU_DEP_4) | instskip(NEXT) | instid1(VALU_DEP_4)
	v_fma_f64 v[6:7], v[6:7], v[12:13], v[20:21]
	v_fma_f64 v[10:11], v[10:11], v[16:17], v[22:23]
	s_delay_alu instid0(VALU_DEP_4) | instskip(NEXT) | instid1(VALU_DEP_4)
	v_fma_f64 v[4:5], v[4:5], v[12:13], -v[14:15]
	v_fma_f64 v[8:9], v[8:9], v[16:17], -v[18:19]
	s_delay_alu instid0(VALU_DEP_4) | instskip(NEXT) | instid1(VALU_DEP_4)
	v_add_f64_e32 v[18:19], v[2:3], v[6:7]
	v_add_f64_e32 v[12:13], v[6:7], v[10:11]
	v_add_f64_e64 v[20:21], v[6:7], -v[10:11]
	s_delay_alu instid0(VALU_DEP_4)
	v_add_f64_e32 v[14:15], v[4:5], v[8:9]
	v_add_f64_e64 v[16:17], v[4:5], -v[8:9]
	v_add_f64_e32 v[4:5], v[0:1], v[4:5]
	v_fma_f64 v[12:13], v[12:13], -0.5, v[2:3]
	v_add_f64_e32 v[2:3], v[18:19], v[10:11]
	v_fma_f64 v[14:15], v[14:15], -0.5, v[0:1]
	s_delay_alu instid0(VALU_DEP_4) | instskip(NEXT) | instid1(VALU_DEP_4)
	v_add_f64_e32 v[0:1], v[4:5], v[8:9]
	v_fma_f64 v[10:11], v[16:17], s[6:7], v[12:13]
	v_fma_f64 v[6:7], v[16:17], s[2:3], v[12:13]
	s_delay_alu instid0(VALU_DEP_4)
	v_fma_f64 v[8:9], v[20:21], s[2:3], v[14:15]
	v_fma_f64 v[4:5], v[20:21], s[6:7], v[14:15]
	ds_store_b128 v49, v[0:3] offset:2592
	ds_store_b128 v49, v[8:11] offset:5472
	;; [unrolled: 1-line block ×3, first 2 shown]
.LBB0_23:
	s_wait_alu 0xfffe
	s_or_b32 exec_lo, exec_lo, s1
	global_wb scope:SCOPE_SE
	s_wait_dscnt 0x0
	s_barrier_signal -1
	s_barrier_wait -1
	global_inv scope:SCOPE_SE
	ds_load_b128 v[0:3], v59
	v_sub_nc_u32_e32 v10, v60, v53
	s_mov_b32 s1, exec_lo
                                        ; implicit-def: $vgpr8_vgpr9
                                        ; implicit-def: $vgpr6_vgpr7
                                        ; implicit-def: $vgpr4_vgpr5
	v_cmpx_ne_u32_e32 0, v48
	s_wait_alu 0xfffe
	s_xor_b32 s1, exec_lo, s1
	s_cbranch_execz .LBB0_25
; %bb.24:
	v_mov_b32_e32 v49, 0
	ds_load_b128 v[11:14], v10 offset:8640
	v_lshlrev_b64_e32 v[4:5], 4, v[48:49]
	s_delay_alu instid0(VALU_DEP_1) | instskip(SKIP_1) | instid1(VALU_DEP_2)
	v_add_co_u32 v4, s0, s4, v4
	s_wait_alu 0xf1ff
	v_add_co_ci_u32_e64 v5, s0, s5, v5, s0
	global_load_b128 v[4:7], v[4:5], off offset:8592
	s_wait_dscnt 0x0
	v_add_f64_e64 v[8:9], v[0:1], -v[11:12]
	v_add_f64_e32 v[15:16], v[2:3], v[13:14]
	v_add_f64_e64 v[2:3], v[2:3], -v[13:14]
	v_add_f64_e32 v[0:1], v[0:1], v[11:12]
	s_delay_alu instid0(VALU_DEP_4) | instskip(NEXT) | instid1(VALU_DEP_4)
	v_mul_f64_e32 v[8:9], 0.5, v[8:9]
	v_mul_f64_e32 v[13:14], 0.5, v[15:16]
	s_delay_alu instid0(VALU_DEP_4) | instskip(SKIP_1) | instid1(VALU_DEP_3)
	v_mul_f64_e32 v[2:3], 0.5, v[2:3]
	s_wait_loadcnt 0x0
	v_mul_f64_e32 v[11:12], v[8:9], v[6:7]
	s_delay_alu instid0(VALU_DEP_2) | instskip(SKIP_1) | instid1(VALU_DEP_3)
	v_fma_f64 v[15:16], v[13:14], v[6:7], v[2:3]
	v_fma_f64 v[2:3], v[13:14], v[6:7], -v[2:3]
	v_fma_f64 v[6:7], v[0:1], 0.5, v[11:12]
	v_fma_f64 v[0:1], v[0:1], 0.5, -v[11:12]
	s_delay_alu instid0(VALU_DEP_4) | instskip(NEXT) | instid1(VALU_DEP_4)
	v_fma_f64 v[11:12], -v[4:5], v[8:9], v[15:16]
	v_fma_f64 v[2:3], -v[4:5], v[8:9], v[2:3]
	ds_store_b64 v59, v[11:12] offset:8
	ds_store_b64 v10, v[2:3] offset:8648
	v_fma_f64 v[6:7], v[13:14], v[4:5], v[6:7]
	v_fma_f64 v[8:9], -v[13:14], v[4:5], v[0:1]
	v_dual_mov_b32 v4, v48 :: v_dual_mov_b32 v5, v49
                                        ; implicit-def: $vgpr0_vgpr1
.LBB0_25:
	s_wait_alu 0xfffe
	s_and_not1_saveexec_b32 s0, s1
	s_cbranch_execz .LBB0_27
; %bb.26:
	s_wait_dscnt 0x0
	v_add_f64_e32 v[6:7], v[0:1], v[2:3]
	v_add_f64_e64 v[8:9], v[0:1], -v[2:3]
	s_mov_b32 s2, 0
	v_mov_b32_e32 v4, 0
	s_wait_alu 0xfffe
	s_mov_b32 s3, s2
	s_wait_alu 0xfffe
	v_dual_mov_b32 v0, s2 :: v_dual_mov_b32 v1, s3
	v_mov_b32_e32 v5, 0
	ds_store_b64 v59, v[0:1] offset:8
	ds_store_b64 v10, v[0:1] offset:8648
	ds_load_b64 v[0:1], v60 offset:4328
	s_wait_dscnt 0x0
	v_xor_b32_e32 v1, 0x80000000, v1
	ds_store_b64 v60, v[0:1] offset:4328
.LBB0_27:
	s_wait_alu 0xfffe
	s_or_b32 exec_lo, exec_lo, s0
	v_mov_b32_e32 v57, 0
	v_lshl_add_u32 v23, v56, 4, v60
	v_lshl_add_u32 v25, v54, 4, v60
	s_wait_dscnt 0x0
	s_delay_alu instid0(VALU_DEP_3) | instskip(SKIP_2) | instid1(VALU_DEP_2)
	v_lshlrev_b64_e32 v[0:1], 4, v[56:57]
	v_mov_b32_e32 v55, v57
	v_mov_b32_e32 v53, v57
	v_lshlrev_b64_e32 v[11:12], 4, v[54:55]
	s_delay_alu instid0(VALU_DEP_4) | instskip(SKIP_2) | instid1(VALU_DEP_3)
	v_add_co_u32 v0, s0, s4, v0
	s_wait_alu 0xf1ff
	v_add_co_ci_u32_e64 v1, s0, s5, v1, s0
	v_add_co_u32 v11, s0, s4, v11
	global_load_b128 v[0:3], v[0:1], off offset:8592
	s_wait_alu 0xf1ff
	v_add_co_ci_u32_e64 v12, s0, s5, v12, s0
	global_load_b128 v[11:14], v[11:12], off offset:8592
	ds_store_b64 v59, v[6:7]
	ds_store_b64 v10, v[8:9] offset:8640
	ds_load_b128 v[6:9], v23
	ds_load_b128 v[15:18], v10 offset:7776
	s_wait_dscnt 0x0
	v_add_f64_e64 v[19:20], v[6:7], -v[15:16]
	v_add_f64_e32 v[21:22], v[8:9], v[17:18]
	v_add_f64_e64 v[8:9], v[8:9], -v[17:18]
	v_add_f64_e32 v[6:7], v[6:7], v[15:16]
	s_delay_alu instid0(VALU_DEP_4) | instskip(NEXT) | instid1(VALU_DEP_4)
	v_mul_f64_e32 v[17:18], 0.5, v[19:20]
	v_mul_f64_e32 v[19:20], 0.5, v[21:22]
	s_delay_alu instid0(VALU_DEP_4) | instskip(SKIP_1) | instid1(VALU_DEP_3)
	v_mul_f64_e32 v[8:9], 0.5, v[8:9]
	s_wait_loadcnt 0x1
	v_mul_f64_e32 v[15:16], v[17:18], v[2:3]
	s_delay_alu instid0(VALU_DEP_2) | instskip(SKIP_1) | instid1(VALU_DEP_3)
	v_fma_f64 v[21:22], v[19:20], v[2:3], v[8:9]
	v_fma_f64 v[2:3], v[19:20], v[2:3], -v[8:9]
	v_fma_f64 v[8:9], v[6:7], 0.5, v[15:16]
	v_fma_f64 v[6:7], v[6:7], 0.5, -v[15:16]
	s_delay_alu instid0(VALU_DEP_4) | instskip(NEXT) | instid1(VALU_DEP_4)
	v_fma_f64 v[15:16], -v[0:1], v[17:18], v[21:22]
	v_fma_f64 v[2:3], -v[0:1], v[17:18], v[2:3]
	s_delay_alu instid0(VALU_DEP_4) | instskip(NEXT) | instid1(VALU_DEP_4)
	v_fma_f64 v[17:18], v[19:20], v[0:1], v[8:9]
	v_fma_f64 v[0:1], -v[19:20], v[0:1], v[6:7]
	v_lshlrev_b64_e32 v[6:7], 4, v[52:53]
	s_delay_alu instid0(VALU_DEP_1) | instskip(SKIP_1) | instid1(VALU_DEP_2)
	v_add_co_u32 v6, s0, s4, v6
	s_wait_alu 0xf1ff
	v_add_co_ci_u32_e64 v7, s0, s5, v7, s0
	s_add_nc_u64 s[0:1], s[4:5], 0x2190
	global_load_b128 v[6:9], v[6:7], off offset:8592
	ds_store_2addr_b64 v23, v[17:18], v[15:16] offset1:1
	ds_store_b128 v10, v[0:3] offset:7776
	ds_load_b128 v[0:3], v25
	ds_load_b128 v[15:18], v10 offset:6912
	s_wait_dscnt 0x0
	v_add_f64_e64 v[19:20], v[0:1], -v[15:16]
	v_add_f64_e32 v[21:22], v[2:3], v[17:18]
	v_add_f64_e64 v[2:3], v[2:3], -v[17:18]
	v_add_f64_e32 v[0:1], v[0:1], v[15:16]
	s_delay_alu instid0(VALU_DEP_4) | instskip(NEXT) | instid1(VALU_DEP_4)
	v_mul_f64_e32 v[17:18], 0.5, v[19:20]
	v_mul_f64_e32 v[19:20], 0.5, v[21:22]
	s_delay_alu instid0(VALU_DEP_4) | instskip(SKIP_1) | instid1(VALU_DEP_3)
	v_mul_f64_e32 v[2:3], 0.5, v[2:3]
	s_wait_loadcnt 0x1
	v_mul_f64_e32 v[15:16], v[17:18], v[13:14]
	s_delay_alu instid0(VALU_DEP_2) | instskip(SKIP_1) | instid1(VALU_DEP_3)
	v_fma_f64 v[21:22], v[19:20], v[13:14], v[2:3]
	v_fma_f64 v[2:3], v[19:20], v[13:14], -v[2:3]
	v_fma_f64 v[23:24], v[0:1], 0.5, v[15:16]
	v_fma_f64 v[0:1], v[0:1], 0.5, -v[15:16]
	s_delay_alu instid0(VALU_DEP_4) | instskip(NEXT) | instid1(VALU_DEP_4)
	v_fma_f64 v[15:16], -v[11:12], v[17:18], v[21:22]
	v_fma_f64 v[13:14], -v[11:12], v[17:18], v[2:3]
	s_delay_alu instid0(VALU_DEP_4) | instskip(NEXT) | instid1(VALU_DEP_4)
	v_fma_f64 v[17:18], v[19:20], v[11:12], v[23:24]
	v_fma_f64 v[11:12], -v[19:20], v[11:12], v[0:1]
	v_lshlrev_b64_e32 v[0:1], 4, v[4:5]
	v_lshl_add_u32 v23, v52, 4, v60
	s_wait_alu 0xfffe
	s_delay_alu instid0(VALU_DEP_2) | instskip(SKIP_1) | instid1(VALU_DEP_3)
	v_add_co_u32 v2, s0, s0, v0
	s_wait_alu 0xf1ff
	v_add_co_ci_u32_e64 v3, s0, s1, v1, s0
	global_load_b128 v[2:5], v[2:3], off offset:3456
	ds_store_2addr_b64 v25, v[17:18], v[15:16] offset1:1
	ds_store_b128 v10, v[11:14] offset:6912
	ds_load_b128 v[11:14], v23
	ds_load_b128 v[15:18], v10 offset:6048
	s_wait_dscnt 0x0
	v_add_f64_e64 v[19:20], v[11:12], -v[15:16]
	v_add_f64_e32 v[21:22], v[13:14], v[17:18]
	v_add_f64_e64 v[13:14], v[13:14], -v[17:18]
	v_add_f64_e32 v[11:12], v[11:12], v[15:16]
	s_delay_alu instid0(VALU_DEP_4) | instskip(NEXT) | instid1(VALU_DEP_4)
	v_mul_f64_e32 v[17:18], 0.5, v[19:20]
	v_mul_f64_e32 v[19:20], 0.5, v[21:22]
	s_delay_alu instid0(VALU_DEP_4) | instskip(SKIP_1) | instid1(VALU_DEP_3)
	v_mul_f64_e32 v[13:14], 0.5, v[13:14]
	s_wait_loadcnt 0x1
	v_mul_f64_e32 v[15:16], v[17:18], v[8:9]
	s_delay_alu instid0(VALU_DEP_2) | instskip(SKIP_1) | instid1(VALU_DEP_3)
	v_fma_f64 v[21:22], v[19:20], v[8:9], v[13:14]
	v_fma_f64 v[8:9], v[19:20], v[8:9], -v[13:14]
	v_fma_f64 v[13:14], v[11:12], 0.5, v[15:16]
	v_fma_f64 v[11:12], v[11:12], 0.5, -v[15:16]
	s_delay_alu instid0(VALU_DEP_4) | instskip(NEXT) | instid1(VALU_DEP_4)
	v_fma_f64 v[15:16], -v[6:7], v[17:18], v[21:22]
	v_fma_f64 v[8:9], -v[6:7], v[17:18], v[8:9]
	s_delay_alu instid0(VALU_DEP_4) | instskip(NEXT) | instid1(VALU_DEP_4)
	v_fma_f64 v[13:14], v[19:20], v[6:7], v[13:14]
	v_fma_f64 v[6:7], -v[19:20], v[6:7], v[11:12]
	ds_store_2addr_b64 v23, v[13:14], v[15:16] offset1:1
	ds_store_b128 v10, v[6:9] offset:6048
	ds_load_b128 v[6:9], v59 offset:3456
	ds_load_b128 v[11:14], v10 offset:5184
	s_wait_dscnt 0x0
	v_add_f64_e64 v[15:16], v[6:7], -v[11:12]
	v_add_f64_e32 v[17:18], v[8:9], v[13:14]
	v_add_f64_e64 v[8:9], v[8:9], -v[13:14]
	v_add_f64_e32 v[6:7], v[6:7], v[11:12]
	s_delay_alu instid0(VALU_DEP_4) | instskip(NEXT) | instid1(VALU_DEP_4)
	v_mul_f64_e32 v[13:14], 0.5, v[15:16]
	v_mul_f64_e32 v[15:16], 0.5, v[17:18]
	s_delay_alu instid0(VALU_DEP_4) | instskip(SKIP_1) | instid1(VALU_DEP_3)
	v_mul_f64_e32 v[8:9], 0.5, v[8:9]
	s_wait_loadcnt 0x0
	v_mul_f64_e32 v[11:12], v[13:14], v[4:5]
	s_delay_alu instid0(VALU_DEP_2) | instskip(SKIP_1) | instid1(VALU_DEP_3)
	v_fma_f64 v[17:18], v[15:16], v[4:5], v[8:9]
	v_fma_f64 v[4:5], v[15:16], v[4:5], -v[8:9]
	v_fma_f64 v[8:9], v[6:7], 0.5, v[11:12]
	v_fma_f64 v[6:7], v[6:7], 0.5, -v[11:12]
	s_delay_alu instid0(VALU_DEP_4) | instskip(NEXT) | instid1(VALU_DEP_4)
	v_fma_f64 v[11:12], -v[2:3], v[13:14], v[17:18]
	v_fma_f64 v[4:5], -v[2:3], v[13:14], v[4:5]
	s_delay_alu instid0(VALU_DEP_4) | instskip(NEXT) | instid1(VALU_DEP_4)
	v_fma_f64 v[8:9], v[15:16], v[2:3], v[8:9]
	v_fma_f64 v[2:3], -v[15:16], v[2:3], v[6:7]
	v_add_nc_u32_e32 v6, 0x800, v59
	ds_store_2addr_b64 v6, v[8:9], v[11:12] offset0:176 offset1:177
	ds_store_b128 v10, v[2:5] offset:5184
	global_wb scope:SCOPE_SE
	s_wait_dscnt 0x0
	s_barrier_signal -1
	s_barrier_wait -1
	global_inv scope:SCOPE_SE
	s_and_saveexec_b32 s0, vcc_lo
	s_cbranch_execz .LBB0_30
; %bb.28:
	ds_load_b128 v[4:7], v59
	ds_load_b128 v[8:11], v59 offset:864
	ds_load_b128 v[12:15], v59 offset:1728
	;; [unrolled: 1-line block ×9, first 2 shown]
	v_add_co_u32 v2, vcc_lo, s8, v50
	s_wait_alu 0xfffd
	v_add_co_ci_u32_e32 v3, vcc_lo, s9, v51, vcc_lo
	s_delay_alu instid0(VALU_DEP_2) | instskip(SKIP_1) | instid1(VALU_DEP_2)
	v_add_co_u32 v0, vcc_lo, v2, v0
	s_wait_alu 0xfffd
	v_add_co_ci_u32_e32 v1, vcc_lo, v3, v1, vcc_lo
	v_cmp_eq_u32_e32 vcc_lo, 53, v48
	s_wait_dscnt 0x9
	global_store_b128 v[0:1], v[4:7], off
	s_wait_dscnt 0x8
	global_store_b128 v[0:1], v[8:11], off offset:864
	s_wait_dscnt 0x7
	global_store_b128 v[0:1], v[12:15], off offset:1728
	;; [unrolled: 2-line block ×9, first 2 shown]
	s_and_b32 exec_lo, exec_lo, vcc_lo
	s_cbranch_execz .LBB0_30
; %bb.29:
	ds_load_b128 v[4:7], v59 offset:7792
	s_wait_dscnt 0x0
	global_store_b128 v[2:3], v[4:7], off offset:8640
.LBB0_30:
	s_nop 0
	s_sendmsg sendmsg(MSG_DEALLOC_VGPRS)
	s_endpgm
	.section	.rodata,"a",@progbits
	.p2align	6, 0x0
	.amdhsa_kernel fft_rtc_fwd_len540_factors_3_10_6_3_wgs_216_tpt_54_halfLds_dp_ip_CI_unitstride_sbrr_R2C_dirReg
		.amdhsa_group_segment_fixed_size 0
		.amdhsa_private_segment_fixed_size 0
		.amdhsa_kernarg_size 88
		.amdhsa_user_sgpr_count 2
		.amdhsa_user_sgpr_dispatch_ptr 0
		.amdhsa_user_sgpr_queue_ptr 0
		.amdhsa_user_sgpr_kernarg_segment_ptr 1
		.amdhsa_user_sgpr_dispatch_id 0
		.amdhsa_user_sgpr_private_segment_size 0
		.amdhsa_wavefront_size32 1
		.amdhsa_uses_dynamic_stack 0
		.amdhsa_enable_private_segment 0
		.amdhsa_system_sgpr_workgroup_id_x 1
		.amdhsa_system_sgpr_workgroup_id_y 0
		.amdhsa_system_sgpr_workgroup_id_z 0
		.amdhsa_system_sgpr_workgroup_info 0
		.amdhsa_system_vgpr_workitem_id 0
		.amdhsa_next_free_vgpr 121
		.amdhsa_next_free_sgpr 32
		.amdhsa_reserve_vcc 1
		.amdhsa_float_round_mode_32 0
		.amdhsa_float_round_mode_16_64 0
		.amdhsa_float_denorm_mode_32 3
		.amdhsa_float_denorm_mode_16_64 3
		.amdhsa_fp16_overflow 0
		.amdhsa_workgroup_processor_mode 1
		.amdhsa_memory_ordered 1
		.amdhsa_forward_progress 0
		.amdhsa_round_robin_scheduling 0
		.amdhsa_exception_fp_ieee_invalid_op 0
		.amdhsa_exception_fp_denorm_src 0
		.amdhsa_exception_fp_ieee_div_zero 0
		.amdhsa_exception_fp_ieee_overflow 0
		.amdhsa_exception_fp_ieee_underflow 0
		.amdhsa_exception_fp_ieee_inexact 0
		.amdhsa_exception_int_div_zero 0
	.end_amdhsa_kernel
	.text
.Lfunc_end0:
	.size	fft_rtc_fwd_len540_factors_3_10_6_3_wgs_216_tpt_54_halfLds_dp_ip_CI_unitstride_sbrr_R2C_dirReg, .Lfunc_end0-fft_rtc_fwd_len540_factors_3_10_6_3_wgs_216_tpt_54_halfLds_dp_ip_CI_unitstride_sbrr_R2C_dirReg
                                        ; -- End function
	.section	.AMDGPU.csdata,"",@progbits
; Kernel info:
; codeLenInByte = 8572
; NumSgprs: 34
; NumVgprs: 121
; ScratchSize: 0
; MemoryBound: 0
; FloatMode: 240
; IeeeMode: 1
; LDSByteSize: 0 bytes/workgroup (compile time only)
; SGPRBlocks: 4
; VGPRBlocks: 15
; NumSGPRsForWavesPerEU: 34
; NumVGPRsForWavesPerEU: 121
; Occupancy: 10
; WaveLimiterHint : 1
; COMPUTE_PGM_RSRC2:SCRATCH_EN: 0
; COMPUTE_PGM_RSRC2:USER_SGPR: 2
; COMPUTE_PGM_RSRC2:TRAP_HANDLER: 0
; COMPUTE_PGM_RSRC2:TGID_X_EN: 1
; COMPUTE_PGM_RSRC2:TGID_Y_EN: 0
; COMPUTE_PGM_RSRC2:TGID_Z_EN: 0
; COMPUTE_PGM_RSRC2:TIDIG_COMP_CNT: 0
	.text
	.p2alignl 7, 3214868480
	.fill 96, 4, 3214868480
	.type	__hip_cuid_4a40ae0737ae7a6,@object ; @__hip_cuid_4a40ae0737ae7a6
	.section	.bss,"aw",@nobits
	.globl	__hip_cuid_4a40ae0737ae7a6
__hip_cuid_4a40ae0737ae7a6:
	.byte	0                               ; 0x0
	.size	__hip_cuid_4a40ae0737ae7a6, 1

	.ident	"AMD clang version 19.0.0git (https://github.com/RadeonOpenCompute/llvm-project roc-6.4.0 25133 c7fe45cf4b819c5991fe208aaa96edf142730f1d)"
	.section	".note.GNU-stack","",@progbits
	.addrsig
	.addrsig_sym __hip_cuid_4a40ae0737ae7a6
	.amdgpu_metadata
---
amdhsa.kernels:
  - .args:
      - .actual_access:  read_only
        .address_space:  global
        .offset:         0
        .size:           8
        .value_kind:     global_buffer
      - .offset:         8
        .size:           8
        .value_kind:     by_value
      - .actual_access:  read_only
        .address_space:  global
        .offset:         16
        .size:           8
        .value_kind:     global_buffer
      - .actual_access:  read_only
        .address_space:  global
        .offset:         24
        .size:           8
        .value_kind:     global_buffer
      - .offset:         32
        .size:           8
        .value_kind:     by_value
      - .actual_access:  read_only
        .address_space:  global
        .offset:         40
        .size:           8
        .value_kind:     global_buffer
      - .actual_access:  read_only
        .address_space:  global
        .offset:         48
        .size:           8
        .value_kind:     global_buffer
      - .offset:         56
        .size:           4
        .value_kind:     by_value
      - .actual_access:  read_only
        .address_space:  global
        .offset:         64
        .size:           8
        .value_kind:     global_buffer
      - .actual_access:  read_only
        .address_space:  global
        .offset:         72
        .size:           8
        .value_kind:     global_buffer
      - .address_space:  global
        .offset:         80
        .size:           8
        .value_kind:     global_buffer
    .group_segment_fixed_size: 0
    .kernarg_segment_align: 8
    .kernarg_segment_size: 88
    .language:       OpenCL C
    .language_version:
      - 2
      - 0
    .max_flat_workgroup_size: 216
    .name:           fft_rtc_fwd_len540_factors_3_10_6_3_wgs_216_tpt_54_halfLds_dp_ip_CI_unitstride_sbrr_R2C_dirReg
    .private_segment_fixed_size: 0
    .sgpr_count:     34
    .sgpr_spill_count: 0
    .symbol:         fft_rtc_fwd_len540_factors_3_10_6_3_wgs_216_tpt_54_halfLds_dp_ip_CI_unitstride_sbrr_R2C_dirReg.kd
    .uniform_work_group_size: 1
    .uses_dynamic_stack: false
    .vgpr_count:     121
    .vgpr_spill_count: 0
    .wavefront_size: 32
    .workgroup_processor_mode: 1
amdhsa.target:   amdgcn-amd-amdhsa--gfx1201
amdhsa.version:
  - 1
  - 2
...

	.end_amdgpu_metadata
